;; amdgpu-corpus repo=ROCm/rocFFT kind=compiled arch=gfx1201 opt=O3
	.text
	.amdgcn_target "amdgcn-amd-amdhsa--gfx1201"
	.amdhsa_code_object_version 6
	.protected	fft_rtc_fwd_len3888_factors_16_3_3_3_3_3_wgs_324_tpt_324_halfLds_dp_ip_CI_unitstride_sbrr_dirReg ; -- Begin function fft_rtc_fwd_len3888_factors_16_3_3_3_3_3_wgs_324_tpt_324_halfLds_dp_ip_CI_unitstride_sbrr_dirReg
	.globl	fft_rtc_fwd_len3888_factors_16_3_3_3_3_3_wgs_324_tpt_324_halfLds_dp_ip_CI_unitstride_sbrr_dirReg
	.p2align	8
	.type	fft_rtc_fwd_len3888_factors_16_3_3_3_3_3_wgs_324_tpt_324_halfLds_dp_ip_CI_unitstride_sbrr_dirReg,@function
fft_rtc_fwd_len3888_factors_16_3_3_3_3_3_wgs_324_tpt_324_halfLds_dp_ip_CI_unitstride_sbrr_dirReg: ; @fft_rtc_fwd_len3888_factors_16_3_3_3_3_3_wgs_324_tpt_324_halfLds_dp_ip_CI_unitstride_sbrr_dirReg
; %bb.0:
	s_clause 0x2
	s_load_b128 s[4:7], s[0:1], 0x0
	s_load_b64 s[8:9], s[0:1], 0x50
	s_load_b64 s[10:11], s[0:1], 0x18
	v_mul_u32_u24_e32 v1, 0x195, v0
	v_mov_b32_e32 v3, 0
	s_delay_alu instid0(VALU_DEP_2) | instskip(NEXT) | instid1(VALU_DEP_1)
	v_lshrrev_b32_e32 v1, 17, v1
	v_add_nc_u32_e32 v5, ttmp9, v1
	v_mov_b32_e32 v1, 0
	v_mov_b32_e32 v2, 0
	;; [unrolled: 1-line block ×3, first 2 shown]
	s_wait_kmcnt 0x0
	v_cmp_lt_u64_e64 s2, s[6:7], 2
	s_delay_alu instid0(VALU_DEP_1)
	s_and_b32 vcc_lo, exec_lo, s2
	s_cbranch_vccnz .LBB0_8
; %bb.1:
	s_load_b64 s[2:3], s[0:1], 0x10
	v_mov_b32_e32 v1, 0
	v_mov_b32_e32 v2, 0
	s_add_nc_u64 s[12:13], s[10:11], 8
	s_mov_b64 s[14:15], 1
	s_wait_kmcnt 0x0
	s_add_nc_u64 s[16:17], s[2:3], 8
	s_mov_b32 s3, 0
.LBB0_2:                                ; =>This Inner Loop Header: Depth=1
	s_load_b64 s[18:19], s[16:17], 0x0
                                        ; implicit-def: $vgpr7_vgpr8
	s_mov_b32 s2, exec_lo
	s_wait_kmcnt 0x0
	v_or_b32_e32 v4, s19, v6
	s_delay_alu instid0(VALU_DEP_1)
	v_cmpx_ne_u64_e32 0, v[3:4]
	s_wait_alu 0xfffe
	s_xor_b32 s20, exec_lo, s2
	s_cbranch_execz .LBB0_4
; %bb.3:                                ;   in Loop: Header=BB0_2 Depth=1
	s_cvt_f32_u32 s2, s18
	s_cvt_f32_u32 s21, s19
	s_sub_nc_u64 s[24:25], 0, s[18:19]
	s_wait_alu 0xfffe
	s_delay_alu instid0(SALU_CYCLE_1) | instskip(SKIP_1) | instid1(SALU_CYCLE_2)
	s_fmamk_f32 s2, s21, 0x4f800000, s2
	s_wait_alu 0xfffe
	v_s_rcp_f32 s2, s2
	s_delay_alu instid0(TRANS32_DEP_1) | instskip(SKIP_1) | instid1(SALU_CYCLE_2)
	s_mul_f32 s2, s2, 0x5f7ffffc
	s_wait_alu 0xfffe
	s_mul_f32 s21, s2, 0x2f800000
	s_wait_alu 0xfffe
	s_delay_alu instid0(SALU_CYCLE_2) | instskip(SKIP_1) | instid1(SALU_CYCLE_2)
	s_trunc_f32 s21, s21
	s_wait_alu 0xfffe
	s_fmamk_f32 s2, s21, 0xcf800000, s2
	s_cvt_u32_f32 s23, s21
	s_wait_alu 0xfffe
	s_delay_alu instid0(SALU_CYCLE_1) | instskip(SKIP_1) | instid1(SALU_CYCLE_2)
	s_cvt_u32_f32 s22, s2
	s_wait_alu 0xfffe
	s_mul_u64 s[26:27], s[24:25], s[22:23]
	s_wait_alu 0xfffe
	s_mul_hi_u32 s29, s22, s27
	s_mul_i32 s28, s22, s27
	s_mul_hi_u32 s2, s22, s26
	s_mul_i32 s30, s23, s26
	s_wait_alu 0xfffe
	s_add_nc_u64 s[28:29], s[2:3], s[28:29]
	s_mul_hi_u32 s21, s23, s26
	s_mul_hi_u32 s31, s23, s27
	s_add_co_u32 s2, s28, s30
	s_wait_alu 0xfffe
	s_add_co_ci_u32 s2, s29, s21
	s_mul_i32 s26, s23, s27
	s_add_co_ci_u32 s27, s31, 0
	s_wait_alu 0xfffe
	s_add_nc_u64 s[26:27], s[2:3], s[26:27]
	s_wait_alu 0xfffe
	v_add_co_u32 v4, s2, s22, s26
	s_delay_alu instid0(VALU_DEP_1) | instskip(SKIP_1) | instid1(VALU_DEP_1)
	s_cmp_lg_u32 s2, 0
	s_add_co_ci_u32 s23, s23, s27
	v_readfirstlane_b32 s22, v4
	s_wait_alu 0xfffe
	s_delay_alu instid0(VALU_DEP_1)
	s_mul_u64 s[24:25], s[24:25], s[22:23]
	s_wait_alu 0xfffe
	s_mul_hi_u32 s27, s22, s25
	s_mul_i32 s26, s22, s25
	s_mul_hi_u32 s2, s22, s24
	s_mul_i32 s28, s23, s24
	s_wait_alu 0xfffe
	s_add_nc_u64 s[26:27], s[2:3], s[26:27]
	s_mul_hi_u32 s21, s23, s24
	s_mul_hi_u32 s22, s23, s25
	s_wait_alu 0xfffe
	s_add_co_u32 s2, s26, s28
	s_add_co_ci_u32 s2, s27, s21
	s_mul_i32 s24, s23, s25
	s_add_co_ci_u32 s25, s22, 0
	s_wait_alu 0xfffe
	s_add_nc_u64 s[24:25], s[2:3], s[24:25]
	s_wait_alu 0xfffe
	v_add_co_u32 v4, s2, v4, s24
	s_delay_alu instid0(VALU_DEP_1) | instskip(SKIP_1) | instid1(VALU_DEP_1)
	s_cmp_lg_u32 s2, 0
	s_add_co_ci_u32 s2, s23, s25
	v_mul_hi_u32 v13, v5, v4
	s_wait_alu 0xfffe
	v_mad_co_u64_u32 v[7:8], null, v5, s2, 0
	v_mad_co_u64_u32 v[9:10], null, v6, v4, 0
	;; [unrolled: 1-line block ×3, first 2 shown]
	s_delay_alu instid0(VALU_DEP_3) | instskip(SKIP_1) | instid1(VALU_DEP_4)
	v_add_co_u32 v4, vcc_lo, v13, v7
	s_wait_alu 0xfffd
	v_add_co_ci_u32_e32 v7, vcc_lo, 0, v8, vcc_lo
	s_delay_alu instid0(VALU_DEP_2) | instskip(SKIP_1) | instid1(VALU_DEP_2)
	v_add_co_u32 v4, vcc_lo, v4, v9
	s_wait_alu 0xfffd
	v_add_co_ci_u32_e32 v4, vcc_lo, v7, v10, vcc_lo
	s_wait_alu 0xfffd
	v_add_co_ci_u32_e32 v7, vcc_lo, 0, v12, vcc_lo
	s_delay_alu instid0(VALU_DEP_2) | instskip(SKIP_1) | instid1(VALU_DEP_2)
	v_add_co_u32 v4, vcc_lo, v4, v11
	s_wait_alu 0xfffd
	v_add_co_ci_u32_e32 v9, vcc_lo, 0, v7, vcc_lo
	s_delay_alu instid0(VALU_DEP_2) | instskip(SKIP_1) | instid1(VALU_DEP_3)
	v_mul_lo_u32 v10, s19, v4
	v_mad_co_u64_u32 v[7:8], null, s18, v4, 0
	v_mul_lo_u32 v11, s18, v9
	s_delay_alu instid0(VALU_DEP_2) | instskip(NEXT) | instid1(VALU_DEP_2)
	v_sub_co_u32 v7, vcc_lo, v5, v7
	v_add3_u32 v8, v8, v11, v10
	s_delay_alu instid0(VALU_DEP_1) | instskip(SKIP_1) | instid1(VALU_DEP_1)
	v_sub_nc_u32_e32 v10, v6, v8
	s_wait_alu 0xfffd
	v_subrev_co_ci_u32_e64 v10, s2, s19, v10, vcc_lo
	v_add_co_u32 v11, s2, v4, 2
	s_wait_alu 0xf1ff
	v_add_co_ci_u32_e64 v12, s2, 0, v9, s2
	v_sub_co_u32 v13, s2, v7, s18
	v_sub_co_ci_u32_e32 v8, vcc_lo, v6, v8, vcc_lo
	s_wait_alu 0xf1ff
	v_subrev_co_ci_u32_e64 v10, s2, 0, v10, s2
	s_delay_alu instid0(VALU_DEP_3) | instskip(NEXT) | instid1(VALU_DEP_3)
	v_cmp_le_u32_e32 vcc_lo, s18, v13
	v_cmp_eq_u32_e64 s2, s19, v8
	s_wait_alu 0xfffd
	v_cndmask_b32_e64 v13, 0, -1, vcc_lo
	v_cmp_le_u32_e32 vcc_lo, s19, v10
	s_wait_alu 0xfffd
	v_cndmask_b32_e64 v14, 0, -1, vcc_lo
	v_cmp_le_u32_e32 vcc_lo, s18, v7
	;; [unrolled: 3-line block ×3, first 2 shown]
	s_wait_alu 0xfffd
	v_cndmask_b32_e64 v15, 0, -1, vcc_lo
	v_cmp_eq_u32_e32 vcc_lo, s19, v10
	s_wait_alu 0xf1ff
	s_delay_alu instid0(VALU_DEP_2)
	v_cndmask_b32_e64 v7, v15, v7, s2
	s_wait_alu 0xfffd
	v_cndmask_b32_e32 v10, v14, v13, vcc_lo
	v_add_co_u32 v13, vcc_lo, v4, 1
	s_wait_alu 0xfffd
	v_add_co_ci_u32_e32 v14, vcc_lo, 0, v9, vcc_lo
	s_delay_alu instid0(VALU_DEP_3) | instskip(SKIP_2) | instid1(VALU_DEP_3)
	v_cmp_ne_u32_e32 vcc_lo, 0, v10
	s_wait_alu 0xfffd
	v_cndmask_b32_e32 v10, v13, v11, vcc_lo
	v_cndmask_b32_e32 v8, v14, v12, vcc_lo
	v_cmp_ne_u32_e32 vcc_lo, 0, v7
	s_wait_alu 0xfffd
	s_delay_alu instid0(VALU_DEP_2)
	v_dual_cndmask_b32 v7, v4, v10 :: v_dual_cndmask_b32 v8, v9, v8
.LBB0_4:                                ;   in Loop: Header=BB0_2 Depth=1
	s_wait_alu 0xfffe
	s_and_not1_saveexec_b32 s2, s20
	s_cbranch_execz .LBB0_6
; %bb.5:                                ;   in Loop: Header=BB0_2 Depth=1
	v_cvt_f32_u32_e32 v4, s18
	s_sub_co_i32 s20, 0, s18
	s_delay_alu instid0(VALU_DEP_1) | instskip(NEXT) | instid1(TRANS32_DEP_1)
	v_rcp_iflag_f32_e32 v4, v4
	v_mul_f32_e32 v4, 0x4f7ffffe, v4
	s_delay_alu instid0(VALU_DEP_1) | instskip(SKIP_1) | instid1(VALU_DEP_1)
	v_cvt_u32_f32_e32 v4, v4
	s_wait_alu 0xfffe
	v_mul_lo_u32 v7, s20, v4
	s_delay_alu instid0(VALU_DEP_1) | instskip(NEXT) | instid1(VALU_DEP_1)
	v_mul_hi_u32 v7, v4, v7
	v_add_nc_u32_e32 v4, v4, v7
	s_delay_alu instid0(VALU_DEP_1) | instskip(NEXT) | instid1(VALU_DEP_1)
	v_mul_hi_u32 v4, v5, v4
	v_mul_lo_u32 v7, v4, s18
	v_add_nc_u32_e32 v8, 1, v4
	s_delay_alu instid0(VALU_DEP_2) | instskip(NEXT) | instid1(VALU_DEP_1)
	v_sub_nc_u32_e32 v7, v5, v7
	v_subrev_nc_u32_e32 v9, s18, v7
	v_cmp_le_u32_e32 vcc_lo, s18, v7
	s_wait_alu 0xfffd
	s_delay_alu instid0(VALU_DEP_2) | instskip(NEXT) | instid1(VALU_DEP_1)
	v_dual_cndmask_b32 v7, v7, v9 :: v_dual_cndmask_b32 v4, v4, v8
	v_cmp_le_u32_e32 vcc_lo, s18, v7
	s_delay_alu instid0(VALU_DEP_2) | instskip(SKIP_1) | instid1(VALU_DEP_1)
	v_add_nc_u32_e32 v8, 1, v4
	s_wait_alu 0xfffd
	v_dual_cndmask_b32 v7, v4, v8 :: v_dual_mov_b32 v8, v3
.LBB0_6:                                ;   in Loop: Header=BB0_2 Depth=1
	s_wait_alu 0xfffe
	s_or_b32 exec_lo, exec_lo, s2
	s_load_b64 s[20:21], s[12:13], 0x0
	s_delay_alu instid0(VALU_DEP_1)
	v_mul_lo_u32 v4, v8, s18
	v_mul_lo_u32 v11, v7, s19
	v_mad_co_u64_u32 v[9:10], null, v7, s18, 0
	s_add_nc_u64 s[14:15], s[14:15], 1
	s_add_nc_u64 s[12:13], s[12:13], 8
	s_wait_alu 0xfffe
	v_cmp_ge_u64_e64 s2, s[14:15], s[6:7]
	s_add_nc_u64 s[16:17], s[16:17], 8
	s_delay_alu instid0(VALU_DEP_2) | instskip(NEXT) | instid1(VALU_DEP_3)
	v_add3_u32 v4, v10, v11, v4
	v_sub_co_u32 v5, vcc_lo, v5, v9
	s_wait_alu 0xfffd
	s_delay_alu instid0(VALU_DEP_2) | instskip(SKIP_3) | instid1(VALU_DEP_2)
	v_sub_co_ci_u32_e32 v4, vcc_lo, v6, v4, vcc_lo
	s_and_b32 vcc_lo, exec_lo, s2
	s_wait_kmcnt 0x0
	v_mul_lo_u32 v6, s21, v5
	v_mul_lo_u32 v4, s20, v4
	v_mad_co_u64_u32 v[1:2], null, s20, v5, v[1:2]
	s_delay_alu instid0(VALU_DEP_1)
	v_add3_u32 v2, v6, v2, v4
	s_wait_alu 0xfffe
	s_cbranch_vccnz .LBB0_9
; %bb.7:                                ;   in Loop: Header=BB0_2 Depth=1
	v_dual_mov_b32 v5, v7 :: v_dual_mov_b32 v6, v8
	s_branch .LBB0_2
.LBB0_8:
	v_dual_mov_b32 v8, v6 :: v_dual_mov_b32 v7, v5
.LBB0_9:
	s_lshl_b64 s[2:3], s[6:7], 3
	v_mul_hi_u32_u24_e32 v3, 0xca4588, v0
	s_wait_alu 0xfffe
	s_add_nc_u64 s[2:3], s[10:11], s[2:3]
                                        ; implicit-def: $vgpr18_vgpr19
                                        ; implicit-def: $vgpr14_vgpr15
                                        ; implicit-def: $vgpr26_vgpr27
                                        ; implicit-def: $vgpr38_vgpr39
                                        ; implicit-def: $vgpr30_vgpr31
                                        ; implicit-def: $vgpr10_vgpr11
                                        ; implicit-def: $vgpr42_vgpr43
                                        ; implicit-def: $vgpr50_vgpr51
                                        ; implicit-def: $vgpr34_vgpr35
                                        ; implicit-def: $vgpr58_vgpr59
                                        ; implicit-def: $vgpr54_vgpr55
                                        ; implicit-def: $vgpr62_vgpr63
                                        ; implicit-def: $vgpr46_vgpr47
                                        ; implicit-def: $vgpr22_vgpr23
	s_load_b64 s[2:3], s[2:3], 0x0
	s_load_b64 s[0:1], s[0:1], 0x20
	v_mul_u32_u24_e32 v3, 0x144, v3
	s_delay_alu instid0(VALU_DEP_1)
	v_sub_nc_u32_e32 v64, v0, v3
	s_wait_kmcnt 0x0
	v_mul_lo_u32 v4, s2, v8
	v_mul_lo_u32 v5, s3, v7
	v_mad_co_u64_u32 v[1:2], null, s2, v7, v[1:2]
	v_cmp_gt_u64_e32 vcc_lo, s[0:1], v[7:8]
	v_cmp_gt_u32_e64 s0, 0xf3, v64
                                        ; implicit-def: $vgpr6_vgpr7
	s_delay_alu instid0(VALU_DEP_1) | instskip(NEXT) | instid1(VALU_DEP_3)
	s_and_b32 s1, vcc_lo, s0
	v_add3_u32 v2, v5, v2, v4
	s_delay_alu instid0(VALU_DEP_1)
	v_lshlrev_b64_e32 v[66:67], 4, v[1:2]
                                        ; implicit-def: $vgpr2_vgpr3
	s_wait_alu 0xfffe
	s_and_saveexec_b32 s2, s1
; %bb.10:
	v_mov_b32_e32 v65, 0
	s_delay_alu instid0(VALU_DEP_2) | instskip(SKIP_2) | instid1(VALU_DEP_3)
	v_add_co_u32 v2, s1, s8, v66
	s_wait_alu 0xf1ff
	v_add_co_ci_u32_e64 v3, s1, s9, v67, s1
	v_lshlrev_b64_e32 v[0:1], 4, v[64:65]
	s_delay_alu instid0(VALU_DEP_1) | instskip(SKIP_1) | instid1(VALU_DEP_2)
	v_add_co_u32 v60, s1, v2, v0
	s_wait_alu 0xf1ff
	v_add_co_ci_u32_e64 v61, s1, v3, v1, s1
	s_clause 0xf
	global_load_b128 v[0:3], v[60:61], off
	global_load_b128 v[16:19], v[60:61], off offset:3888
	global_load_b128 v[12:15], v[60:61], off offset:7776
	;; [unrolled: 1-line block ×15, first 2 shown]
; %bb.11:
	s_wait_alu 0xfffe
	s_or_b32 exec_lo, exec_lo, s2
	s_wait_loadcnt 0x6
	v_add_f64_e64 v[44:45], v[16:17], -v[44:45]
	v_add_f64_e64 v[46:47], v[18:19], -v[46:47]
	s_wait_loadcnt 0x2
	v_add_f64_e64 v[56:57], v[36:37], -v[56:57]
	v_add_f64_e64 v[58:59], v[38:39], -v[58:59]
	;; [unrolled: 1-line block ×4, first 2 shown]
	s_wait_loadcnt 0x0
	v_add_f64_e64 v[62:63], v[30:31], -v[62:63]
	v_add_f64_e64 v[60:61], v[28:29], -v[60:61]
	;; [unrolled: 1-line block ×6, first 2 shown]
	s_mov_b32 s2, 0x667f3bcd
	s_mov_b32 s3, 0x3fe6a09e
	;; [unrolled: 1-line block ×3, first 2 shown]
	s_wait_alu 0xfffe
	s_mov_b32 s6, s2
	v_add_f64_e64 v[80:81], v[6:7], -v[34:35]
	v_fma_f64 v[68:69], v[16:17], 2.0, -v[44:45]
	v_fma_f64 v[18:19], v[18:19], 2.0, -v[46:47]
	v_fma_f64 v[16:17], v[36:37], 2.0, -v[56:57]
	v_fma_f64 v[36:37], v[38:39], 2.0, -v[58:59]
	v_fma_f64 v[24:25], v[24:25], 2.0, -v[48:49]
	v_fma_f64 v[26:27], v[26:27], 2.0, -v[50:51]
	v_add_f64_e64 v[82:83], v[44:45], -v[58:59]
	v_add_f64_e32 v[84:85], v[56:57], v[46:47]
	v_add_f64_e64 v[38:39], v[48:49], -v[62:63]
	v_add_f64_e32 v[70:71], v[50:51], v[60:61]
	v_fma_f64 v[30:31], v[30:31], 2.0, -v[62:63]
	v_fma_f64 v[28:29], v[28:29], 2.0, -v[60:61]
	v_add_f64_e32 v[74:75], v[42:43], v[52:53]
	v_fma_f64 v[58:59], v[14:15], 2.0, -v[42:43]
	v_fma_f64 v[14:15], v[20:21], 2.0, -v[52:53]
	;; [unrolled: 1-line block ×3, first 2 shown]
	v_add_f64_e64 v[60:61], v[68:69], -v[16:17]
	v_add_f64_e64 v[62:63], v[18:19], -v[36:37]
	v_fma_f64 v[16:17], v[12:13], 2.0, -v[40:41]
	v_fma_f64 v[86:87], v[44:45], 2.0, -v[82:83]
	;; [unrolled: 1-line block ×5, first 2 shown]
	v_add_f64_e64 v[30:31], v[26:27], -v[30:31]
	v_add_f64_e64 v[28:29], v[24:25], -v[28:29]
	;; [unrolled: 1-line block ×3, first 2 shown]
	v_fma_f64 v[36:37], v[38:39], s[2:3], v[82:83]
	v_fma_f64 v[72:73], v[70:71], s[2:3], v[84:85]
	v_fma_f64 v[12:13], v[68:69], 2.0, -v[60:61]
	v_fma_f64 v[56:57], v[18:19], 2.0, -v[62:63]
	s_wait_alu 0xfffe
	v_fma_f64 v[76:77], v[44:45], s[6:7], v[86:87]
	v_fma_f64 v[78:79], v[48:49], s[6:7], v[46:47]
	v_add_f64_e64 v[88:89], v[60:61], -v[30:31]
	v_add_f64_e32 v[90:91], v[28:29], v[62:63]
	v_fma_f64 v[22:23], v[40:41], 2.0, -v[50:51]
	v_fma_f64 v[40:41], v[42:43], 2.0, -v[74:75]
	;; [unrolled: 1-line block ×4, first 2 shown]
	v_fma_f64 v[24:25], v[70:71], s[6:7], v[36:37]
	v_fma_f64 v[36:37], v[38:39], s[2:3], v[72:73]
	v_add_f64_e64 v[72:73], v[58:59], -v[20:21]
	v_mul_f64_e32 v[68:69], s[2:3], v[50:51]
	v_mul_f64_e32 v[74:75], s[2:3], v[74:75]
	v_fma_f64 v[28:29], v[48:49], s[6:7], v[76:77]
	v_fma_f64 v[38:39], v[44:45], s[2:3], v[78:79]
	v_fma_f64 v[30:31], v[60:61], 2.0, -v[88:89]
	v_fma_f64 v[52:53], v[62:63], 2.0, -v[90:91]
	v_add_f64_e64 v[78:79], v[4:5], -v[32:33]
	v_add_f64_e64 v[60:61], v[16:17], -v[14:15]
	v_mul_f64_e32 v[70:71], s[2:3], v[22:23]
	v_mul_f64_e32 v[76:77], s[2:3], v[40:41]
	v_add_f64_e64 v[34:35], v[12:13], -v[18:19]
	v_add_f64_e64 v[62:63], v[56:57], -v[26:27]
	v_fma_f64 v[32:33], v[82:83], 2.0, -v[24:25]
	v_fma_f64 v[48:49], v[84:85], 2.0, -v[36:37]
	v_mul_f64_e32 v[44:45], s[2:3], v[88:89]
	v_mul_f64_e32 v[54:55], s[2:3], v[90:91]
	v_fma_f64 v[42:43], v[86:87], 2.0, -v[28:29]
	v_fma_f64 v[50:51], v[46:47], 2.0, -v[38:39]
	v_mul_f64_e32 v[46:47], s[2:3], v[30:31]
	v_mul_f64_e32 v[52:53], s[2:3], v[52:53]
	s_and_saveexec_b32 s1, s0
	s_cbranch_execz .LBB0_13
; %bb.12:
	v_add_f64_e64 v[8:9], v[0:1], -v[8:9]
	v_fma_f64 v[4:5], v[4:5], 2.0, -v[78:79]
	v_fma_f64 v[16:17], v[16:17], 2.0, -v[60:61]
	s_mov_b32 s6, 0xa6aea964
	s_mov_b32 s7, 0xbfd87de2
	;; [unrolled: 1-line block ×3, first 2 shown]
	s_wait_alu 0xfffe
	s_mov_b32 s10, s6
	s_mov_b32 s3, 0x3fed906b
	;; [unrolled: 1-line block ×3, first 2 shown]
	s_delay_alu instid0(VALU_DEP_3) | instskip(SKIP_1) | instid1(VALU_DEP_2)
	v_add_f64_e64 v[14:15], v[8:9], -v[80:81]
	v_fma_f64 v[0:1], v[0:1], 2.0, -v[8:9]
	v_fma_f64 v[8:9], v[8:9], 2.0, -v[14:15]
	s_delay_alu instid0(VALU_DEP_2) | instskip(SKIP_1) | instid1(VALU_DEP_3)
	v_add_f64_e64 v[4:5], v[0:1], -v[4:5]
	v_add_f64_e32 v[20:21], v[68:69], v[14:15]
	v_add_f64_e64 v[18:19], v[8:9], -v[70:71]
	s_delay_alu instid0(VALU_DEP_3) | instskip(NEXT) | instid1(VALU_DEP_3)
	v_fma_f64 v[0:1], v[0:1], 2.0, -v[4:5]
	v_add_f64_e64 v[30:31], v[20:21], -v[74:75]
	v_add_f64_e64 v[40:41], v[4:5], -v[72:73]
	v_fma_f64 v[20:21], v[12:13], 2.0, -v[34:35]
	v_add_f64_e64 v[26:27], v[18:19], -v[76:77]
	v_add_f64_e64 v[86:87], v[0:1], -v[16:17]
	v_fma_f64 v[98:99], v[14:15], 2.0, -v[30:31]
	v_fma_f64 v[4:5], v[4:5], 2.0, -v[40:41]
	s_wait_alu 0xfffe
	v_fma_f64 v[16:17], v[24:25], s[2:3], v[30:31]
	v_add_f64_e32 v[22:23], v[44:45], v[40:41]
	s_mov_b32 s3, 0xbfed906b
	v_fma_f64 v[8:9], v[8:9], 2.0, -v[26:27]
	v_fma_f64 v[14:15], v[28:29], s[10:11], v[26:27]
	v_fma_f64 v[0:1], v[0:1], 2.0, -v[86:87]
	v_fma_f64 v[84:85], v[32:33], s[6:7], v[98:99]
	v_add_f64_e64 v[88:89], v[4:5], -v[46:47]
	v_add_f64_e64 v[12:13], v[86:87], -v[62:63]
	v_fma_f64 v[18:19], v[36:37], s[6:7], v[16:17]
	v_add_f64_e64 v[16:17], v[22:23], -v[54:55]
	s_wait_alu 0xfffe
	v_fma_f64 v[82:83], v[42:43], s[2:3], v[8:9]
	v_fma_f64 v[14:15], v[38:39], s[2:3], v[14:15]
	v_add_f64_e64 v[20:21], v[0:1], -v[20:21]
	v_fma_f64 v[84:85], v[48:49], s[2:3], v[84:85]
	v_fma_f64 v[86:87], v[86:87], 2.0, -v[12:13]
	v_fma_f64 v[92:93], v[30:31], 2.0, -v[18:19]
	;; [unrolled: 1-line block ×3, first 2 shown]
	v_fma_f64 v[22:23], v[50:51], s[6:7], v[82:83]
	v_add_f64_e64 v[82:83], v[88:89], -v[52:53]
	v_fma_f64 v[88:89], v[26:27], 2.0, -v[14:15]
	v_fma_f64 v[94:95], v[0:1], 2.0, -v[20:21]
	;; [unrolled: 1-line block ×3, first 2 shown]
	v_lshl_add_u32 v0, v64, 7, 0
	v_fma_f64 v[96:97], v[8:9], 2.0, -v[22:23]
	v_fma_f64 v[98:99], v[4:5], 2.0, -v[82:83]
	ds_store_b128 v0, v[86:89] offset:32
	ds_store_b128 v0, v[90:93] offset:48
	ds_store_b128 v0, v[20:23] offset:64
	ds_store_b128 v0, v[82:85] offset:80
	ds_store_b128 v0, v[94:97]
	ds_store_b128 v0, v[98:101] offset:16
	ds_store_b128 v0, v[12:15] offset:96
	;; [unrolled: 1-line block ×3, first 2 shown]
.LBB0_13:
	s_wait_alu 0xfffe
	s_or_b32 exec_lo, exec_lo, s1
	v_lshl_add_u32 v65, v64, 3, 0
	global_wb scope:SCOPE_SE
	s_wait_dscnt 0x0
	s_barrier_signal -1
	s_barrier_wait -1
	global_inv scope:SCOPE_SE
	ds_load_b64 v[0:1], v65
	ds_load_b64 v[4:5], v65 offset:2592
	ds_load_b64 v[8:9], v65 offset:5184
	;; [unrolled: 1-line block ×11, first 2 shown]
	global_wb scope:SCOPE_SE
	s_wait_dscnt 0x0
	s_barrier_signal -1
	s_barrier_wait -1
	global_inv scope:SCOPE_SE
	s_and_saveexec_b32 s1, s0
	s_cbranch_execz .LBB0_15
; %bb.14:
	v_add_f64_e64 v[10:11], v[2:3], -v[10:11]
	v_fma_f64 v[6:7], v[6:7], 2.0, -v[80:81]
	v_fma_f64 v[58:59], v[58:59], 2.0, -v[72:73]
	s_mov_b32 s3, 0xbfed906b
	s_mov_b32 s2, 0xcf328d46
	s_mov_b32 s6, 0xa6aea964
	s_mov_b32 s7, 0x3fd87de2
	s_mov_b32 s11, 0xbfd87de2
	s_wait_alu 0xfffe
	s_mov_b32 s10, s6
	v_fma_f64 v[56:57], v[56:57], 2.0, -v[62:63]
	s_delay_alu instid0(VALU_DEP_4) | instskip(SKIP_1) | instid1(VALU_DEP_2)
	v_add_f64_e32 v[78:79], v[78:79], v[10:11]
	v_fma_f64 v[2:3], v[2:3], 2.0, -v[10:11]
	v_fma_f64 v[10:11], v[10:11], 2.0, -v[78:79]
	s_delay_alu instid0(VALU_DEP_2) | instskip(SKIP_1) | instid1(VALU_DEP_3)
	v_add_f64_e64 v[6:7], v[2:3], -v[6:7]
	v_add_f64_e32 v[74:75], v[78:79], v[74:75]
	v_add_f64_e64 v[76:77], v[10:11], -v[76:77]
	s_delay_alu instid0(VALU_DEP_3) | instskip(SKIP_1) | instid1(VALU_DEP_4)
	v_fma_f64 v[2:3], v[2:3], 2.0, -v[6:7]
	v_add_f64_e32 v[60:61], v[60:61], v[6:7]
	v_add_f64_e32 v[80:81], v[68:69], v[74:75]
	s_delay_alu instid0(VALU_DEP_4) | instskip(NEXT) | instid1(VALU_DEP_4)
	v_add_f64_e32 v[76:77], v[70:71], v[76:77]
	v_add_f64_e64 v[58:59], v[2:3], -v[58:59]
	s_delay_alu instid0(VALU_DEP_4) | instskip(NEXT) | instid1(VALU_DEP_4)
	v_fma_f64 v[6:7], v[6:7], 2.0, -v[60:61]
	v_fma_f64 v[74:75], v[78:79], 2.0, -v[80:81]
	v_add_f64_e32 v[54:55], v[54:55], v[60:61]
	v_fma_f64 v[10:11], v[10:11], 2.0, -v[76:77]
	v_fma_f64 v[2:3], v[2:3], 2.0, -v[58:59]
	v_add_f64_e64 v[52:53], v[6:7], -v[52:53]
	s_wait_alu 0xfffe
	v_fma_f64 v[62:63], v[48:49], s[10:11], v[74:75]
	v_fma_f64 v[38:39], v[38:39], s[6:7], v[76:77]
	v_add_f64_e32 v[44:45], v[44:45], v[54:55]
	v_add_f64_e32 v[34:35], v[34:35], v[58:59]
	v_fma_f64 v[50:51], v[50:51], s[2:3], v[10:11]
	s_mov_b32 s3, 0x3fed906b
	v_add_f64_e64 v[48:49], v[2:3], -v[56:57]
	s_wait_alu 0xfffe
	v_fma_f64 v[68:69], v[36:37], s[2:3], v[80:81]
	v_add_f64_e32 v[52:53], v[46:47], v[52:53]
	v_fma_f64 v[54:55], v[32:33], s[2:3], v[62:63]
	v_fma_f64 v[36:37], v[28:29], s[2:3], v[38:39]
	v_fma_f64 v[56:57], v[58:59], 2.0, -v[34:35]
	v_fma_f64 v[60:61], v[60:61], 2.0, -v[44:45]
	v_fma_f64 v[50:51], v[42:43], s[6:7], v[50:51]
	v_fma_f64 v[46:47], v[24:25], s[6:7], v[68:69]
	v_fma_f64 v[68:69], v[2:3], 2.0, -v[48:49]
	v_fma_f64 v[72:73], v[6:7], 2.0, -v[52:53]
	;; [unrolled: 1-line block ×4, first 2 shown]
	v_mad_u32_u24 v2, 0x78, v64, v65
	v_fma_f64 v[70:71], v[10:11], 2.0, -v[50:51]
	v_fma_f64 v[62:63], v[80:81], 2.0, -v[46:47]
	ds_store_b128 v2, v[48:51] offset:64
	ds_store_b128 v2, v[52:55] offset:80
	ds_store_b128 v2, v[68:71]
	ds_store_b128 v2, v[72:75] offset:16
	ds_store_b128 v2, v[56:59] offset:32
	;; [unrolled: 1-line block ×5, first 2 shown]
.LBB0_15:
	s_wait_alu 0xfffe
	s_or_b32 exec_lo, exec_lo, s1
	v_and_b32_e32 v90, 15, v64
	global_wb scope:SCOPE_SE
	s_wait_dscnt 0x0
	s_barrier_signal -1
	s_barrier_wait -1
	global_inv scope:SCOPE_SE
	v_lshlrev_b32_e32 v2, 5, v90
	v_add_nc_u32_e32 v32, 0x144, v64
	v_add_nc_u32_e32 v29, 0x288, v64
	;; [unrolled: 1-line block ×3, first 2 shown]
	s_mov_b32 s2, 0xe8584caa
	s_clause 0x1
	global_load_b128 v[33:36], v2, s[4:5]
	global_load_b128 v[42:45], v2, s[4:5] offset:16
	v_and_b32_e32 v91, 15, v32
	v_and_b32_e32 v92, 15, v29
	;; [unrolled: 1-line block ×3, first 2 shown]
	s_mov_b32 s3, 0x3febb67a
	s_mov_b32 s7, 0xbfebb67a
	v_lshlrev_b32_e32 v3, 5, v91
	v_lshlrev_b32_e32 v2, 5, v92
	s_clause 0x1
	global_load_b128 v[46:49], v3, s[4:5]
	global_load_b128 v[50:53], v3, s[4:5] offset:16
	v_lshlrev_b32_e32 v3, 5, v93
	s_clause 0x3
	global_load_b128 v[54:57], v2, s[4:5]
	global_load_b128 v[58:61], v2, s[4:5] offset:16
	global_load_b128 v[68:71], v3, s[4:5]
	global_load_b128 v[72:75], v3, s[4:5] offset:16
	ds_load_b64 v[2:3], v65 offset:10368
	ds_load_b64 v[6:7], v65 offset:12960
	;; [unrolled: 1-line block ×8, first 2 shown]
	s_wait_alu 0xfffe
	s_mov_b32 s6, s2
	s_wait_loadcnt_dscnt 0x707
	v_mul_f64_e32 v[37:38], v[2:3], v[35:36]
	v_mul_f64_e32 v[35:36], v[40:41], v[35:36]
	s_wait_loadcnt_dscnt 0x603
	v_mul_f64_e32 v[82:83], v[62:63], v[44:45]
	s_wait_loadcnt 0x5
	v_mul_f64_e32 v[84:85], v[6:7], v[48:49]
	s_wait_loadcnt_dscnt 0x402
	v_mul_f64_e32 v[86:87], v[76:77], v[52:53]
	s_wait_loadcnt_dscnt 0x0
	v_mul_f64_e32 v[88:89], v[80:81], v[74:75]
	v_fma_f64 v[37:38], v[40:41], v[33:34], -v[37:38]
	v_mul_f64_e32 v[39:40], v[10:11], v[56:57]
	v_fma_f64 v[2:3], v[2:3], v[33:34], v[35:36]
	v_mul_f64_e32 v[33:34], v[78:79], v[60:61]
	v_mul_f64_e32 v[35:36], v[24:25], v[70:71]
	v_fma_f64 v[82:83], v[30:31], v[42:43], -v[82:83]
	v_mul_f64_e32 v[30:31], v[30:31], v[44:45]
	v_fma_f64 v[44:45], v[22:23], v[46:47], -v[84:85]
	v_mul_f64_e32 v[22:23], v[22:23], v[48:49]
	v_fma_f64 v[48:49], v[26:27], v[50:51], -v[86:87]
	v_mul_f64_e32 v[26:27], v[26:27], v[52:53]
	v_and_b32_e32 v86, 0xffff, v28
	v_fma_f64 v[52:53], v[16:17], v[72:73], -v[88:89]
	v_mul_f64_e32 v[16:17], v[16:17], v[74:75]
	v_fma_f64 v[39:40], v[18:19], v[54:55], -v[39:40]
	v_mul_f64_e32 v[18:19], v[18:19], v[56:57]
	;; [unrolled: 2-line block ×4, first 2 shown]
	v_fma_f64 v[30:31], v[62:63], v[42:43], v[30:31]
	v_lshrrev_b32_e32 v43, 4, v64
	v_add_f64_e32 v[56:57], v[4:5], v[44:45]
	v_fma_f64 v[6:7], v[6:7], v[46:47], v[22:23]
	v_add_f64_e32 v[46:47], v[0:1], v[37:38]
	v_fma_f64 v[22:23], v[76:77], v[50:51], v[26:27]
	v_mul_u32_u24_e32 v43, 48, v43
	v_fma_f64 v[16:17], v[80:81], v[72:73], v[16:17]
	v_and_b32_e32 v80, 0xffff, v64
	v_lshrrev_b32_e32 v81, 4, v28
	s_delay_alu instid0(VALU_DEP_4) | instskip(NEXT) | instid1(VALU_DEP_3)
	v_or_b32_e32 v85, v43, v90
	v_mul_u32_u24_e32 v84, 0xaaab, v80
	v_mul_u32_u24_e32 v80, 0xe38f, v80
	v_fma_f64 v[10:11], v[10:11], v[54:55], v[18:19]
	v_add_f64_e32 v[26:27], v[39:40], v[33:34]
	v_fma_f64 v[18:19], v[78:79], v[58:59], v[20:21]
	v_add_f64_e32 v[20:21], v[37:38], v[82:83]
	;; [unrolled: 2-line block ×3, first 2 shown]
	v_add_f64_e32 v[41:42], v[35:36], v[52:53]
	v_add_f64_e32 v[54:55], v[2:3], v[30:31]
	;; [unrolled: 1-line block ×4, first 2 shown]
	v_add_f64_e64 v[50:51], v[2:3], -v[30:31]
	v_add_f64_e64 v[37:38], v[37:38], -v[82:83]
	v_add_f64_e32 v[58:59], v[6:7], v[22:23]
	v_add_f64_e64 v[60:61], v[6:7], -v[22:23]
	v_add_f64_e64 v[43:44], v[44:45], -v[48:49]
	;; [unrolled: 1-line block ×4, first 2 shown]
	v_add_f64_e32 v[45:46], v[46:47], v[82:83]
	v_add_f64_e32 v[47:48], v[56:57], v[48:49]
	v_lshrrev_b32_e32 v78, 4, v32
	v_lshrrev_b32_e32 v79, 4, v29
	v_and_b32_e32 v82, 0xffff, v32
	s_delay_alu instid0(VALU_DEP_3)
	v_mul_u32_u24_e32 v78, 48, v78
	v_fma_f64 v[8:9], v[26:27], -0.5, v[8:9]
	v_add_f64_e32 v[62:63], v[10:11], v[18:19]
	v_fma_f64 v[0:1], v[20:21], -0.5, v[0:1]
	v_add_f64_e32 v[70:71], v[14:15], v[16:17]
	v_fma_f64 v[4:5], v[24:25], -0.5, v[4:5]
	ds_load_b64 v[20:21], v65
	ds_load_b64 v[24:25], v65 offset:2592
	v_fma_f64 v[12:13], v[41:42], -0.5, v[12:13]
	ds_load_b64 v[26:27], v65 offset:5184
	ds_load_b64 v[41:42], v65 offset:7776
	v_add_f64_e64 v[76:77], v[14:15], -v[16:17]
	v_add_f64_e64 v[72:73], v[10:11], -v[18:19]
	v_add_f64_e32 v[33:34], v[68:69], v[33:34]
	v_add_f64_e32 v[52:53], v[74:75], v[52:53]
	v_lshl_add_u32 v68, v85, 3, 0
	global_wb scope:SCOPE_SE
	s_wait_dscnt 0x0
	s_barrier_signal -1
	s_barrier_wait -1
	global_inv scope:SCOPE_SE
	v_and_b32_e32 v85, 0xffff, v29
	v_add_f64_e32 v[2:3], v[20:21], v[2:3]
	v_fma_f64 v[20:21], v[54:55], -0.5, v[20:21]
	v_add_f64_e32 v[10:11], v[26:27], v[10:11]
	v_add_f64_e32 v[14:15], v[41:42], v[14:15]
	;; [unrolled: 1-line block ×3, first 2 shown]
	v_fma_f64 v[24:25], v[58:59], -0.5, v[24:25]
	v_fma_f64 v[26:27], v[62:63], -0.5, v[26:27]
	v_fma_f64 v[54:55], v[50:51], s[2:3], v[0:1]
	v_fma_f64 v[41:42], v[70:71], -0.5, v[41:42]
	s_wait_alu 0xfffe
	v_fma_f64 v[0:1], v[50:51], s[6:7], v[0:1]
	v_fma_f64 v[49:50], v[60:61], s[2:3], v[4:5]
	;; [unrolled: 1-line block ×3, first 2 shown]
	v_lshrrev_b32_e32 v63, 21, v84
	v_mul_u32_u24_e32 v51, 48, v79
	v_fma_f64 v[58:59], v[76:77], s[2:3], v[12:13]
	v_fma_f64 v[56:57], v[72:73], s[2:3], v[8:9]
	;; [unrolled: 1-line block ×4, first 2 shown]
	v_mul_lo_u16 v61, v63, 48
	v_mul_u32_u24_e32 v60, 48, v81
	v_or_b32_e32 v62, v78, v91
	v_or_b32_e32 v51, v51, v92
	v_lshrrev_b32_e32 v91, 23, v80
	v_sub_nc_u16 v61, v64, v61
	v_or_b32_e32 v60, v60, v93
	v_lshl_add_u32 v62, v62, 3, 0
	v_lshl_add_u32 v69, v51, 3, 0
	v_mul_lo_u16 v80, 0x90, v91
	v_and_b32_e32 v81, 0xffff, v61
	v_lshl_add_u32 v61, v60, 3, 0
	v_add_f64_e32 v[2:3], v[2:3], v[30:31]
	ds_store_2addr_b64 v68, v[45:46], v[54:55] offset1:16
	ds_store_b64 v68, v[0:1] offset:256
	ds_store_2addr_b64 v62, v[47:48], v[49:50] offset1:16
	ds_store_b64 v62, v[4:5] offset:256
	ds_store_2addr_b64 v69, v[33:34], v[56:57] offset1:16
	ds_store_b64 v69, v[8:9] offset:256
	ds_store_2addr_b64 v61, v[52:53], v[58:59] offset1:16
	ds_store_b64 v61, v[12:13] offset:256
	v_add_f64_e32 v[14:15], v[14:15], v[16:17]
	v_fma_f64 v[16:17], v[37:38], s[6:7], v[20:21]
	v_add_f64_e32 v[10:11], v[10:11], v[18:19]
	v_fma_f64 v[18:19], v[37:38], s[2:3], v[20:21]
	;; [unrolled: 2-line block ×3, first 2 shown]
	v_fma_f64 v[22:23], v[43:44], s[2:3], v[24:25]
	v_fma_f64 v[24:25], v[39:40], s[6:7], v[26:27]
	;; [unrolled: 1-line block ×5, first 2 shown]
	v_lshlrev_b32_e32 v70, 5, v81
	global_wb scope:SCOPE_SE
	s_wait_dscnt 0x0
	s_barrier_signal -1
	s_barrier_wait -1
	global_inv scope:SCOPE_SE
	ds_load_b64 v[37:38], v65
	ds_load_b64 v[39:40], v65 offset:2592
	ds_load_b64 v[41:42], v65 offset:5184
	;; [unrolled: 1-line block ×11, first 2 shown]
	global_wb scope:SCOPE_SE
	s_wait_dscnt 0x0
	s_barrier_signal -1
	s_barrier_wait -1
	global_inv scope:SCOPE_SE
	v_mul_u32_u24_e32 v8, 0xaaab, v82
	v_mul_u32_u24_e32 v13, 0xaaab, v85
	v_sub_nc_u16 v80, v64, v80
	ds_store_2addr_b64 v68, v[2:3], v[16:17] offset1:16
	ds_store_b64 v68, v[18:19] offset:256
	ds_store_2addr_b64 v62, v[6:7], v[20:21] offset1:16
	ds_store_b64 v62, v[22:23] offset:256
	;; [unrolled: 2-line block ×4, first 2 shown]
	global_wb scope:SCOPE_SE
	s_wait_dscnt 0x0
	s_barrier_signal -1
	s_barrier_wait -1
	global_inv scope:SCOPE_SE
	s_clause 0x1
	global_load_b128 v[0:3], v70, s[4:5] offset:512
	global_load_b128 v[4:7], v70, s[4:5] offset:528
	v_lshrrev_b32_e32 v83, 21, v8
	v_lshrrev_b32_e32 v87, 21, v13
	v_mul_u32_u24_e32 v13, 0xaaab, v86
	s_delay_alu instid0(VALU_DEP_3) | instskip(NEXT) | instid1(VALU_DEP_3)
	v_mul_lo_u16 v8, v83, 48
	v_mul_lo_u16 v14, v87, 48
	s_delay_alu instid0(VALU_DEP_3) | instskip(NEXT) | instid1(VALU_DEP_3)
	v_lshrrev_b32_e32 v88, 21, v13
	v_sub_nc_u16 v8, v32, v8
	s_delay_alu instid0(VALU_DEP_3) | instskip(NEXT) | instid1(VALU_DEP_3)
	v_sub_nc_u16 v13, v29, v14
	v_mul_lo_u16 v14, v88, 48
	s_delay_alu instid0(VALU_DEP_3) | instskip(NEXT) | instid1(VALU_DEP_3)
	v_and_b32_e32 v84, 0xffff, v8
	v_and_b32_e32 v89, 0xffff, v13
	s_delay_alu instid0(VALU_DEP_3) | instskip(NEXT) | instid1(VALU_DEP_3)
	v_sub_nc_u16 v16, v28, v14
	v_lshlrev_b32_e32 v12, 5, v84
	s_delay_alu instid0(VALU_DEP_3) | instskip(NEXT) | instid1(VALU_DEP_3)
	v_lshlrev_b32_e32 v20, 5, v89
	v_and_b32_e32 v90, 0xffff, v16
	s_clause 0x1
	global_load_b128 v[8:11], v12, s[4:5] offset:512
	global_load_b128 v[12:15], v12, s[4:5] offset:528
	v_lshlrev_b32_e32 v30, 5, v90
	s_clause 0x3
	global_load_b128 v[16:19], v20, s[4:5] offset:512
	global_load_b128 v[20:23], v20, s[4:5] offset:528
	;; [unrolled: 1-line block ×4, first 2 shown]
	ds_load_b64 v[30:31], v65 offset:10368
	ds_load_b64 v[61:62], v65 offset:12960
	;; [unrolled: 1-line block ×5, first 2 shown]
	s_wait_loadcnt_dscnt 0x704
	v_mul_f64_e32 v[72:73], v[30:31], v[2:3]
	v_mul_f64_e32 v[2:3], v[45:46], v[2:3]
	s_delay_alu instid0(VALU_DEP_2) | instskip(NEXT) | instid1(VALU_DEP_2)
	v_fma_f64 v[45:46], v[45:46], v[0:1], -v[72:73]
	v_fma_f64 v[0:1], v[30:31], v[0:1], v[2:3]
	s_wait_loadcnt_dscnt 0x600
	v_mul_f64_e32 v[2:3], v[74:75], v[6:7]
	v_mul_f64_e32 v[6:7], v[53:54], v[6:7]
	s_wait_loadcnt 0x5
	v_mul_f64_e32 v[30:31], v[61:62], v[10:11]
	v_mul_f64_e32 v[10:11], v[47:48], v[10:11]
	ds_load_b64 v[72:73], v65 offset:23328
	ds_load_b64 v[76:77], v65 offset:25920
	;; [unrolled: 1-line block ×3, first 2 shown]
	v_fma_f64 v[2:3], v[53:54], v[4:5], -v[2:3]
	v_fma_f64 v[4:5], v[74:75], v[4:5], v[6:7]
	s_wait_loadcnt_dscnt 0x402
	v_mul_f64_e32 v[6:7], v[72:73], v[14:15]
	s_wait_loadcnt 0x3
	v_mul_f64_e32 v[53:54], v[68:69], v[18:19]
	s_wait_loadcnt_dscnt 0x201
	v_mul_f64_e32 v[74:75], v[76:77], v[22:23]
	v_fma_f64 v[30:31], v[47:48], v[8:9], -v[30:31]
	s_wait_loadcnt 0x1
	v_mul_f64_e32 v[47:48], v[70:71], v[26:27]
	v_fma_f64 v[8:9], v[61:62], v[8:9], v[10:11]
	s_wait_loadcnt_dscnt 0x0
	v_mul_f64_e32 v[10:11], v[78:79], v[35:36]
	v_mul_f64_e32 v[14:15], v[55:56], v[14:15]
	;; [unrolled: 1-line block ×6, first 2 shown]
	v_fma_f64 v[6:7], v[55:56], v[12:13], -v[6:7]
	v_fma_f64 v[49:50], v[49:50], v[16:17], -v[53:54]
	;; [unrolled: 1-line block ×3, first 2 shown]
	v_add_f64_e32 v[55:56], v[0:1], v[4:5]
	v_fma_f64 v[47:48], v[51:52], v[24:25], -v[47:48]
	v_add_f64_e32 v[57:58], v[39:40], v[30:31]
	v_fma_f64 v[10:11], v[59:60], v[33:34], -v[10:11]
	v_fma_f64 v[12:13], v[72:73], v[12:13], v[14:15]
	v_fma_f64 v[14:15], v[68:69], v[16:17], v[18:19]
	v_fma_f64 v[16:17], v[76:77], v[20:21], v[22:23]
	v_fma_f64 v[18:19], v[70:71], v[24:25], v[26:27]
	v_fma_f64 v[20:21], v[78:79], v[33:34], v[35:36]
	v_add_f64_e32 v[22:23], v[45:46], v[2:3]
	v_add_f64_e32 v[35:36], v[37:38], v[45:46]
	v_add_f64_e64 v[51:52], v[0:1], -v[4:5]
	v_add_f64_e64 v[45:46], v[45:46], -v[2:3]
	v_add_f64_e32 v[24:25], v[30:31], v[6:7]
	v_add_f64_e32 v[70:71], v[41:42], v[49:50]
	;; [unrolled: 1-line block ×3, first 2 shown]
	v_add_f64_e64 v[30:31], v[30:31], -v[6:7]
	v_add_f64_e32 v[76:77], v[43:44], v[47:48]
	v_add_f64_e64 v[49:50], v[49:50], -v[53:54]
	v_add_f64_e32 v[33:34], v[47:48], v[10:11]
	v_add_f64_e32 v[59:60], v[8:9], v[12:13]
	v_add_f64_e64 v[61:62], v[8:9], -v[12:13]
	v_add_f64_e32 v[68:69], v[14:15], v[16:17]
	v_add_f64_e64 v[74:75], v[14:15], -v[16:17]
	v_add_f64_e32 v[72:73], v[18:19], v[20:21]
	v_fma_f64 v[22:23], v[22:23], -0.5, v[37:38]
	ds_load_b64 v[37:38], v65
	v_add_f64_e64 v[78:79], v[18:19], -v[20:21]
	v_add_f64_e64 v[47:48], v[47:48], -v[10:11]
	v_add_f64_e32 v[2:3], v[35:36], v[2:3]
	v_add_f64_e32 v[6:7], v[57:58], v[6:7]
	v_fma_f64 v[24:25], v[24:25], -0.5, v[39:40]
	ds_load_b64 v[39:40], v65 offset:2592
	v_fma_f64 v[26:27], v[26:27], -0.5, v[41:42]
	s_wait_dscnt 0x1
	v_add_f64_e32 v[0:1], v[37:38], v[0:1]
	v_fma_f64 v[37:38], v[55:56], -0.5, v[37:38]
	v_add_f64_e32 v[10:11], v[76:77], v[10:11]
	v_fma_f64 v[33:34], v[33:34], -0.5, v[43:44]
	ds_load_b64 v[41:42], v65 offset:5184
	ds_load_b64 v[43:44], v65 offset:7776
	global_wb scope:SCOPE_SE
	s_wait_dscnt 0x0
	s_barrier_signal -1
	s_barrier_wait -1
	global_inv scope:SCOPE_SE
	v_add_f64_e32 v[8:9], v[39:40], v[8:9]
	v_fma_f64 v[39:40], v[59:60], -0.5, v[39:40]
	v_mul_u32_u24_e32 v59, 0x480, v63
	v_and_b32_e32 v63, 0xffff, v80
	v_mul_u32_u24_e32 v60, 0x480, v83
	v_add_f64_e32 v[14:15], v[41:42], v[14:15]
	v_add_f64_e32 v[18:19], v[43:44], v[18:19]
	v_fma_f64 v[41:42], v[68:69], -0.5, v[41:42]
	v_fma_f64 v[35:36], v[72:73], -0.5, v[43:44]
	v_add_f64_e32 v[43:44], v[70:71], v[53:54]
	v_fma_f64 v[53:54], v[51:52], s[2:3], v[22:23]
	v_fma_f64 v[22:23], v[51:52], s[6:7], v[22:23]
	v_lshlrev_b32_e32 v68, 3, v81
	v_lshlrev_b32_e32 v69, 3, v84
	;; [unrolled: 1-line block ×5, first 2 shown]
	v_fma_f64 v[51:52], v[61:62], s[2:3], v[24:25]
	v_fma_f64 v[24:25], v[61:62], s[6:7], v[24:25]
	;; [unrolled: 1-line block ×3, first 2 shown]
	v_add_f64_e32 v[0:1], v[0:1], v[4:5]
	v_fma_f64 v[26:27], v[74:75], s[6:7], v[26:27]
	v_mul_u32_u24_e32 v61, 0x480, v87
	v_fma_f64 v[57:58], v[78:79], s[2:3], v[33:34]
	v_fma_f64 v[33:34], v[78:79], s[6:7], v[33:34]
	v_mul_u32_u24_e32 v62, 0x480, v88
	v_add3_u32 v73, 0, v59, v68
	v_add3_u32 v74, 0, v60, v69
	;; [unrolled: 1-line block ×3, first 2 shown]
	v_lshlrev_b32_e32 v63, 3, v63
	v_add3_u32 v71, 0, v62, v71
	ds_store_2addr_b64 v73, v[2:3], v[53:54] offset1:48
	ds_store_b64 v73, v[22:23] offset:768
	ds_store_2addr_b64 v74, v[6:7], v[51:52] offset1:48
	ds_store_b64 v74, v[24:25] offset:768
	;; [unrolled: 2-line block ×4, first 2 shown]
	v_add_f64_e32 v[4:5], v[8:9], v[12:13]
	v_add_f64_e32 v[8:9], v[14:15], v[16:17]
	v_fma_f64 v[14:15], v[45:46], s[6:7], v[37:38]
	v_fma_f64 v[16:17], v[45:46], s[2:3], v[37:38]
	v_add_f64_e32 v[12:13], v[18:19], v[20:21]
	v_fma_f64 v[18:19], v[30:31], s[6:7], v[39:40]
	v_fma_f64 v[20:21], v[30:31], s[2:3], v[39:40]
	;; [unrolled: 1-line block ×6, first 2 shown]
	global_wb scope:SCOPE_SE
	s_wait_dscnt 0x0
	s_barrier_signal -1
	s_barrier_wait -1
	global_inv scope:SCOPE_SE
	ds_load_b64 v[41:42], v65
	ds_load_b64 v[43:44], v65 offset:2592
	ds_load_b64 v[45:46], v65 offset:5184
	;; [unrolled: 1-line block ×11, first 2 shown]
	global_wb scope:SCOPE_SE
	s_wait_dscnt 0x0
	s_barrier_signal -1
	s_barrier_wait -1
	global_inv scope:SCOPE_SE
	ds_store_2addr_b64 v73, v[0:1], v[14:15] offset1:48
	ds_store_b64 v73, v[16:17] offset:768
	ds_store_2addr_b64 v74, v[4:5], v[18:19] offset1:48
	ds_store_b64 v74, v[20:21] offset:768
	;; [unrolled: 2-line block ×4, first 2 shown]
	global_wb scope:SCOPE_SE
	s_wait_dscnt 0x0
	s_barrier_signal -1
	s_barrier_wait -1
	global_inv scope:SCOPE_SE
	s_clause 0x1
	global_load_b128 v[0:3], v72, s[4:5] offset:2048
	global_load_b128 v[4:7], v72, s[4:5] offset:2064
	v_mul_u32_u24_e32 v8, 0xe38f, v82
	v_mul_u32_u24_e32 v9, 0xe38f, v85
	s_delay_alu instid0(VALU_DEP_2) | instskip(SKIP_1) | instid1(VALU_DEP_3)
	v_lshrrev_b32_e32 v84, 23, v8
	v_mul_u32_u24_e32 v8, 0xe38f, v86
	v_lshrrev_b32_e32 v86, 23, v9
	s_delay_alu instid0(VALU_DEP_3) | instskip(NEXT) | instid1(VALU_DEP_3)
	v_mul_lo_u16 v9, 0x90, v84
	v_lshrrev_b32_e32 v87, 23, v8
	s_delay_alu instid0(VALU_DEP_3) | instskip(NEXT) | instid1(VALU_DEP_3)
	v_mul_lo_u16 v8, 0x90, v86
	v_sub_nc_u16 v9, v32, v9
	s_delay_alu instid0(VALU_DEP_3) | instskip(NEXT) | instid1(VALU_DEP_3)
	v_mul_lo_u16 v10, 0x90, v87
	v_sub_nc_u16 v8, v29, v8
	s_delay_alu instid0(VALU_DEP_3) | instskip(NEXT) | instid1(VALU_DEP_3)
	v_and_b32_e32 v88, 0xffff, v9
	v_sub_nc_u16 v9, v28, v10
	s_delay_alu instid0(VALU_DEP_3) | instskip(NEXT) | instid1(VALU_DEP_3)
	v_and_b32_e32 v89, 0xffff, v8
	v_lshlrev_b32_e32 v12, 5, v88
	s_delay_alu instid0(VALU_DEP_3)
	v_and_b32_e32 v90, 0xffff, v9
	s_clause 0x1
	global_load_b128 v[8:11], v12, s[4:5] offset:2048
	global_load_b128 v[12:15], v12, s[4:5] offset:2064
	v_lshlrev_b32_e32 v20, 5, v89
	v_lshlrev_b32_e32 v30, 5, v90
	s_clause 0x3
	global_load_b128 v[16:19], v20, s[4:5] offset:2048
	global_load_b128 v[20:23], v20, s[4:5] offset:2064
	;; [unrolled: 1-line block ×4, first 2 shown]
	ds_load_b64 v[30:31], v65 offset:10368
	ds_load_b64 v[37:38], v65 offset:12960
	;; [unrolled: 1-line block ×8, first 2 shown]
	s_wait_loadcnt_dscnt 0x707
	v_mul_f64_e32 v[72:73], v[30:31], v[2:3]
	v_mul_f64_e32 v[2:3], v[49:50], v[2:3]
	s_wait_loadcnt_dscnt 0x603
	v_mul_f64_e32 v[82:83], v[74:75], v[6:7]
	v_mul_f64_e32 v[6:7], v[57:58], v[6:7]
	s_delay_alu instid0(VALU_DEP_4) | instskip(NEXT) | instid1(VALU_DEP_4)
	v_fma_f64 v[49:50], v[49:50], v[0:1], -v[72:73]
	v_fma_f64 v[2:3], v[30:31], v[0:1], v[2:3]
	s_wait_loadcnt 0x5
	v_mul_f64_e32 v[0:1], v[37:38], v[10:11]
	s_wait_loadcnt_dscnt 0x402
	v_mul_f64_e32 v[30:31], v[76:77], v[14:15]
	s_wait_loadcnt 0x3
	v_mul_f64_e32 v[72:73], v[39:40], v[18:19]
	v_fma_f64 v[57:58], v[57:58], v[4:5], -v[82:83]
	s_wait_loadcnt_dscnt 0x201
	v_mul_f64_e32 v[82:83], v[78:79], v[22:23]
	v_fma_f64 v[4:5], v[74:75], v[4:5], v[6:7]
	s_wait_loadcnt 0x1
	v_mul_f64_e32 v[6:7], v[70:71], v[26:27]
	s_wait_loadcnt_dscnt 0x0
	v_mul_f64_e32 v[74:75], v[80:81], v[35:36]
	v_mul_f64_e32 v[10:11], v[51:52], v[10:11]
	;; [unrolled: 1-line block ×6, first 2 shown]
	v_fma_f64 v[51:52], v[51:52], v[8:9], -v[0:1]
	v_mul_f64_e32 v[0:1], v[59:60], v[14:15]
	v_fma_f64 v[14:15], v[59:60], v[12:13], -v[30:31]
	v_fma_f64 v[30:31], v[53:54], v[16:17], -v[72:73]
	;; [unrolled: 1-line block ×5, first 2 shown]
	v_fma_f64 v[8:9], v[37:38], v[8:9], v[10:11]
	v_add_f64_e32 v[37:38], v[2:3], v[4:5]
	v_fma_f64 v[10:11], v[76:77], v[12:13], v[0:1]
	v_fma_f64 v[12:13], v[39:40], v[16:17], v[18:19]
	;; [unrolled: 1-line block ×5, first 2 shown]
	v_add_f64_e32 v[22:23], v[51:52], v[14:15]
	v_add_f64_e32 v[24:25], v[30:31], v[53:54]
	;; [unrolled: 1-line block ×8, first 2 shown]
	v_add_f64_e64 v[35:36], v[2:3], -v[4:5]
	v_add_f64_e64 v[49:50], v[49:50], -v[57:58]
	v_add_f64_e64 v[51:52], v[51:52], -v[14:15]
	v_add_f64_e64 v[30:31], v[30:31], -v[53:54]
	v_add_f64_e64 v[6:7], v[6:7], -v[55:56]
	v_add_f64_e32 v[59:60], v[8:9], v[10:11]
	v_add_f64_e64 v[61:62], v[8:9], -v[10:11]
	v_add_f64_e32 v[68:69], v[12:13], v[16:17]
	v_add_f64_e64 v[74:75], v[12:13], -v[16:17]
	v_add_f64_e32 v[72:73], v[18:19], v[20:21]
	v_fma_f64 v[22:23], v[22:23], -0.5, v[43:44]
	ds_load_b64 v[43:44], v65
	v_fma_f64 v[24:25], v[24:25], -0.5, v[45:46]
	ds_load_b64 v[45:46], v65 offset:2592
	v_fma_f64 v[26:27], v[26:27], -0.5, v[47:48]
	ds_load_b64 v[47:48], v65 offset:5184
	ds_load_b64 v[80:81], v65 offset:7776
	v_fma_f64 v[41:42], v[0:1], -0.5, v[41:42]
	v_dual_mov_b32 v1, 0 :: v_dual_lshlrev_b32 v0, 1, v64
	v_add_f64_e64 v[78:79], v[18:19], -v[20:21]
	v_add_f64_e32 v[33:34], v[33:34], v[57:58]
	v_add_f64_e32 v[14:15], v[39:40], v[14:15]
	;; [unrolled: 1-line block ×3, first 2 shown]
	v_lshlrev_b64_e32 v[82:83], 4, v[0:1]
	v_mul_u32_u24_e32 v0, 0xd80, v91
	v_mul_u32_u24_e32 v91, 0xd80, v84
	v_add_f64_e32 v[53:54], v[76:77], v[55:56]
	v_lshlrev_b32_e32 v70, 3, v90
	global_wb scope:SCOPE_SE
	s_wait_dscnt 0x0
	v_add3_u32 v0, 0, v0, v63
	s_barrier_signal -1
	v_add_f64_e32 v[84:85], v[43:44], v[2:3]
	v_fma_f64 v[37:38], v[37:38], -0.5, v[43:44]
	v_add_f64_e32 v[8:9], v[45:46], v[8:9]
	v_add_f64_e32 v[12:13], v[47:48], v[12:13]
	;; [unrolled: 1-line block ×3, first 2 shown]
	v_add_co_u32 v2, s0, s4, v82
	s_wait_alu 0xf1ff
	v_add_co_ci_u32_e64 v3, s0, s5, v83, s0
	s_barrier_wait -1
	global_inv scope:SCOPE_SE
	v_cmp_gt_u32_e64 s0, 0x6c, v64
	v_fma_f64 v[43:44], v[59:60], -0.5, v[45:46]
	v_fma_f64 v[45:46], v[68:69], -0.5, v[47:48]
	v_lshlrev_b32_e32 v68, 3, v88
	v_fma_f64 v[47:48], v[72:73], -0.5, v[80:81]
	v_lshlrev_b32_e32 v69, 3, v89
	v_fma_f64 v[57:58], v[74:75], s[2:3], v[24:25]
	v_fma_f64 v[24:25], v[74:75], s[6:7], v[24:25]
	v_add3_u32 v63, 0, v91, v68
	v_fma_f64 v[55:56], v[35:36], s[2:3], v[41:42]
	v_fma_f64 v[35:36], v[35:36], s[6:7], v[41:42]
	;; [unrolled: 1-line block ×6, first 2 shown]
	v_mul_u32_u24_e32 v61, 0xd80, v86
	v_mul_u32_u24_e32 v62, 0xd80, v87
	s_delay_alu instid0(VALU_DEP_2) | instskip(NEXT) | instid1(VALU_DEP_2)
	v_add3_u32 v74, 0, v61, v69
	v_add3_u32 v75, 0, v62, v70
	ds_store_2addr_b64 v0, v[33:34], v[55:56] offset1:144
	ds_store_b64 v0, v[35:36] offset:2304
	ds_store_2addr_b64 v63, v[14:15], v[41:42] offset1:144
	ds_store_b64 v63, v[22:23] offset:2304
	;; [unrolled: 2-line block ×4, first 2 shown]
	v_add_f64_e32 v[4:5], v[84:85], v[4:5]
	v_add_f64_e32 v[8:9], v[8:9], v[10:11]
	;; [unrolled: 1-line block ×3, first 2 shown]
	v_fma_f64 v[16:17], v[49:50], s[6:7], v[37:38]
	v_add_f64_e32 v[12:13], v[18:19], v[20:21]
	v_fma_f64 v[18:19], v[49:50], s[2:3], v[37:38]
	v_fma_f64 v[20:21], v[51:52], s[6:7], v[43:44]
	;; [unrolled: 1-line block ×7, first 2 shown]
	global_wb scope:SCOPE_SE
	s_wait_dscnt 0x0
	s_barrier_signal -1
	s_barrier_wait -1
	global_inv scope:SCOPE_SE
	ds_load_b64 v[41:42], v65
	ds_load_b64 v[47:48], v65 offset:2592
	ds_load_b64 v[49:50], v65 offset:5184
	;; [unrolled: 1-line block ×11, first 2 shown]
	global_wb scope:SCOPE_SE
	s_wait_dscnt 0x0
	s_barrier_signal -1
	s_barrier_wait -1
	global_inv scope:SCOPE_SE
	ds_store_2addr_b64 v0, v[4:5], v[16:17] offset1:144
	ds_store_b64 v0, v[18:19] offset:2304
	ds_store_2addr_b64 v63, v[8:9], v[20:21] offset1:144
	ds_store_b64 v63, v[37:38] offset:2304
	;; [unrolled: 2-line block ×4, first 2 shown]
	global_wb scope:SCOPE_SE
	s_wait_dscnt 0x0
	s_barrier_signal -1
	s_barrier_wait -1
	global_inv scope:SCOPE_SE
	s_clause 0x1
	global_load_b128 v[4:7], v[2:3], off offset:6656
	global_load_b128 v[8:11], v[2:3], off offset:6672
	v_lshrrev_b16 v0, 4, v29
	v_lshrrev_b16 v12, 4, v28
	v_add_nc_u32_e32 v13, 0xffffff94, v64
	s_delay_alu instid0(VALU_DEP_3) | instskip(NEXT) | instid1(VALU_DEP_3)
	v_and_b32_e32 v0, 0xffff, v0
	v_and_b32_e32 v12, 0xffff, v12
	s_wait_alu 0xf1ff
	s_delay_alu instid0(VALU_DEP_3) | instskip(NEXT) | instid1(VALU_DEP_3)
	v_cndmask_b32_e64 v88, v13, v32, s0
	v_mul_u32_u24_e32 v0, 0x12f7, v0
	s_delay_alu instid0(VALU_DEP_3) | instskip(NEXT) | instid1(VALU_DEP_2)
	v_mul_u32_u24_e32 v12, 0x12f7, v12
	v_lshrrev_b32_e32 v63, 17, v0
	s_delay_alu instid0(VALU_DEP_2) | instskip(SKIP_1) | instid1(VALU_DEP_3)
	v_lshrrev_b32_e32 v12, 17, v12
	v_lshlrev_b32_e32 v0, 1, v88
	v_mul_lo_u16 v13, 0x1b0, v63
	s_delay_alu instid0(VALU_DEP_3) | instskip(SKIP_1) | instid1(VALU_DEP_3)
	v_mul_lo_u16 v14, 0x1b0, v12
	v_mul_u32_u24_e32 v63, 0x2880, v63
	v_sub_nc_u16 v15, v29, v13
	v_lshlrev_b64_e32 v[12:13], 4, v[0:1]
	s_delay_alu instid0(VALU_DEP_4) | instskip(NEXT) | instid1(VALU_DEP_3)
	v_sub_nc_u16 v0, v28, v14
	v_and_b32_e32 v89, 0xffff, v15
	s_delay_alu instid0(VALU_DEP_3) | instskip(SKIP_1) | instid1(VALU_DEP_4)
	v_add_co_u32 v16, s0, s4, v12
	s_wait_alu 0xf1ff
	v_add_co_ci_u32_e64 v17, s0, s5, v13, s0
	v_and_b32_e32 v0, 0xffff, v0
	v_lshlrev_b32_e32 v24, 5, v89
	s_clause 0x1
	global_load_b128 v[12:15], v[16:17], off offset:6656
	global_load_b128 v[16:19], v[16:17], off offset:6672
	v_cmp_lt_u32_e64 s0, 0x6b, v64
	v_lshlrev_b32_e32 v30, 5, v0
	s_clause 0x3
	global_load_b128 v[20:23], v24, s[4:5] offset:6656
	global_load_b128 v[24:27], v24, s[4:5] offset:6672
	;; [unrolled: 1-line block ×4, first 2 shown]
	ds_load_b64 v[30:31], v65 offset:10368
	ds_load_b64 v[43:44], v65 offset:12960
	;; [unrolled: 1-line block ×8, first 2 shown]
	v_lshl_add_u32 v0, v0, 3, 0
	s_wait_loadcnt_dscnt 0x707
	v_mul_f64_e32 v[76:77], v[30:31], v[6:7]
	v_mul_f64_e32 v[6:7], v[53:54], v[6:7]
	s_wait_loadcnt_dscnt 0x603
	v_mul_f64_e32 v[86:87], v[78:79], v[10:11]
	v_mul_f64_e32 v[10:11], v[61:62], v[10:11]
	s_delay_alu instid0(VALU_DEP_4) | instskip(NEXT) | instid1(VALU_DEP_4)
	v_fma_f64 v[53:54], v[53:54], v[4:5], -v[76:77]
	v_fma_f64 v[4:5], v[30:31], v[4:5], v[6:7]
	s_wait_loadcnt 0x5
	v_mul_f64_e32 v[6:7], v[43:44], v[14:15]
	s_wait_loadcnt_dscnt 0x402
	v_mul_f64_e32 v[30:31], v[80:81], v[18:19]
	v_fma_f64 v[61:62], v[61:62], v[8:9], -v[86:87]
	s_wait_loadcnt 0x3
	v_mul_f64_e32 v[76:77], v[45:46], v[22:23]
	s_wait_loadcnt_dscnt 0x201
	v_mul_f64_e32 v[86:87], v[82:83], v[26:27]
	v_fma_f64 v[8:9], v[78:79], v[8:9], v[10:11]
	s_wait_loadcnt 0x1
	v_mul_f64_e32 v[10:11], v[74:75], v[35:36]
	s_wait_loadcnt_dscnt 0x0
	v_mul_f64_e32 v[78:79], v[84:85], v[39:40]
	v_mul_f64_e32 v[14:15], v[55:56], v[14:15]
	;; [unrolled: 1-line block ×7, first 2 shown]
	v_fma_f64 v[6:7], v[55:56], v[12:13], -v[6:7]
	v_fma_f64 v[30:31], v[68:69], v[16:17], -v[30:31]
	;; [unrolled: 1-line block ×4, first 2 shown]
	v_add_f64_e32 v[76:77], v[41:42], v[53:54]
	v_fma_f64 v[10:11], v[59:60], v[33:34], -v[10:11]
	v_fma_f64 v[59:60], v[72:73], v[37:38], -v[78:79]
	v_fma_f64 v[12:13], v[43:44], v[12:13], v[14:15]
	v_fma_f64 v[14:15], v[80:81], v[16:17], v[18:19]
	;; [unrolled: 1-line block ×6, first 2 shown]
	v_add_f64_e32 v[24:25], v[53:54], v[61:62]
	v_add_f64_e32 v[37:38], v[4:5], v[8:9]
	v_add_f64_e64 v[78:79], v[4:5], -v[8:9]
	ds_load_b64 v[45:46], v65
	ds_load_b64 v[68:69], v65 offset:2592
	ds_load_b64 v[70:71], v65 offset:5184
	;; [unrolled: 1-line block ×3, first 2 shown]
	global_wb scope:SCOPE_SE
	s_wait_dscnt 0x0
	s_barrier_signal -1
	s_barrier_wait -1
	global_inv scope:SCOPE_SE
	v_add_f64_e32 v[4:5], v[45:46], v[4:5]
	v_add_f64_e32 v[26:27], v[6:7], v[30:31]
	;; [unrolled: 1-line block ×5, first 2 shown]
	v_add_f64_e64 v[80:81], v[12:13], -v[14:15]
	v_add_f64_e32 v[43:44], v[16:17], v[18:19]
	v_add_f64_e64 v[82:83], v[16:17], -v[18:19]
	v_add_f64_e32 v[74:75], v[20:21], v[22:23]
	v_fma_f64 v[24:25], v[24:25], -0.5, v[41:42]
	v_add_f64_e32 v[41:42], v[47:48], v[6:7]
	v_add_f64_e64 v[84:85], v[20:21], -v[22:23]
	v_fma_f64 v[37:38], v[37:38], -0.5, v[45:46]
	v_add_f64_e32 v[12:13], v[68:69], v[12:13]
	v_add_f64_e64 v[6:7], v[6:7], -v[30:31]
	v_add_f64_e32 v[16:17], v[70:71], v[16:17]
	v_add_f64_e64 v[45:46], v[55:56], -v[57:58]
	v_add_f64_e32 v[20:21], v[72:73], v[20:21]
	v_fma_f64 v[26:27], v[26:27], -0.5, v[47:48]
	v_add_f64_e32 v[47:48], v[49:50], v[55:56]
	v_add_f64_e32 v[55:56], v[76:77], v[61:62]
	v_fma_f64 v[33:34], v[33:34], -0.5, v[49:50]
	v_add_f64_e32 v[49:50], v[51:52], v[10:11]
	v_add_f64_e64 v[10:11], v[10:11], -v[59:60]
	v_fma_f64 v[35:36], v[35:36], -0.5, v[51:52]
	v_add_f64_e64 v[51:52], v[53:54], -v[61:62]
	v_fma_f64 v[39:40], v[39:40], -0.5, v[68:69]
	s_wait_alu 0xf1ff
	v_cndmask_b32_e64 v68, 0, 0x2880, s0
	v_fma_f64 v[43:44], v[43:44], -0.5, v[70:71]
	v_lshlrev_b32_e32 v69, 3, v88
	v_fma_f64 v[53:54], v[74:75], -0.5, v[72:73]
	v_fma_f64 v[61:62], v[78:79], s[2:3], v[24:25]
	v_fma_f64 v[24:25], v[78:79], s[6:7], v[24:25]
	v_add_f64_e32 v[30:31], v[41:42], v[30:31]
	v_lshlrev_b32_e32 v70, 3, v89
	v_add_f64_e32 v[72:73], v[16:17], v[18:19]
	s_delay_alu instid0(VALU_DEP_2)
	v_add3_u32 v63, 0, v63, v70
	v_add_f64_e32 v[70:71], v[12:13], v[14:15]
	v_add_f64_e32 v[74:75], v[20:21], v[22:23]
	v_fma_f64 v[41:42], v[80:81], s[2:3], v[26:27]
	v_fma_f64 v[26:27], v[80:81], s[6:7], v[26:27]
	v_add_f64_e32 v[47:48], v[47:48], v[57:58]
	v_fma_f64 v[57:58], v[82:83], s[2:3], v[33:34]
	v_fma_f64 v[33:34], v[82:83], s[6:7], v[33:34]
	;; [unrolled: 3-line block ×3, first 2 shown]
	v_add3_u32 v80, 0, v68, v69
	v_add_f64_e32 v[68:69], v[4:5], v[8:9]
	v_fma_f64 v[76:77], v[51:52], s[6:7], v[37:38]
	v_fma_f64 v[37:38], v[51:52], s[2:3], v[37:38]
	v_fma_f64 v[51:52], v[6:7], s[6:7], v[39:40]
	v_fma_f64 v[39:40], v[6:7], s[2:3], v[39:40]
	v_fma_f64 v[78:79], v[45:46], s[6:7], v[43:44]
	v_fma_f64 v[43:44], v[45:46], s[2:3], v[43:44]
	v_fma_f64 v[45:46], v[10:11], s[6:7], v[53:54]
	v_fma_f64 v[53:54], v[10:11], s[2:3], v[53:54]
	ds_store_b64 v65, v[55:56]
	ds_store_b64 v65, v[61:62] offset:3456
	ds_store_b64 v65, v[24:25] offset:6912
	ds_store_b64 v80, v[30:31]
	ds_store_b64 v80, v[41:42] offset:3456
	ds_store_b64 v80, v[26:27] offset:6912
	;; [unrolled: 3-line block ×3, first 2 shown]
	ds_store_b64 v0, v[49:50] offset:20736
	ds_store_b64 v0, v[59:60] offset:24192
	;; [unrolled: 1-line block ×3, first 2 shown]
	global_wb scope:SCOPE_SE
	s_wait_dscnt 0x0
	s_barrier_signal -1
	s_barrier_wait -1
	global_inv scope:SCOPE_SE
	ds_load_b64 v[6:7], v65
	ds_load_b64 v[4:5], v65 offset:2592
	ds_load_b64 v[10:11], v65 offset:5184
	;; [unrolled: 1-line block ×11, first 2 shown]
	global_wb scope:SCOPE_SE
	s_wait_dscnt 0x0
	s_barrier_signal -1
	s_barrier_wait -1
	global_inv scope:SCOPE_SE
	ds_store_b64 v65, v[68:69]
	ds_store_b64 v65, v[76:77] offset:3456
	ds_store_b64 v65, v[37:38] offset:6912
	ds_store_b64 v80, v[70:71]
	ds_store_b64 v80, v[51:52] offset:3456
	ds_store_b64 v80, v[39:40] offset:6912
	;; [unrolled: 3-line block ×3, first 2 shown]
	ds_store_b64 v0, v[74:75] offset:20736
	ds_store_b64 v0, v[45:46] offset:24192
	;; [unrolled: 1-line block ×3, first 2 shown]
	global_wb scope:SCOPE_SE
	s_wait_dscnt 0x0
	s_barrier_signal -1
	s_barrier_wait -1
	global_inv scope:SCOPE_SE
	s_and_saveexec_b32 s0, vcc_lo
	s_cbranch_execz .LBB0_17
; %bb.16:
	global_load_b128 v[33:36], v[2:3], off offset:20480
	v_lshlrev_b32_e32 v0, 1, v28
	v_mul_hi_u32 v63, 0xca4587e7, v28
	s_delay_alu instid0(VALU_DEP_2) | instskip(SKIP_1) | instid1(VALU_DEP_1)
	v_lshlrev_b64_e32 v[30:31], 4, v[0:1]
	v_lshlrev_b32_e32 v0, 1, v29
	v_lshlrev_b64_e32 v[37:38], 4, v[0:1]
	v_lshlrev_b32_e32 v0, 1, v32
	s_delay_alu instid0(VALU_DEP_4) | instskip(SKIP_2) | instid1(VALU_DEP_3)
	v_add_co_u32 v30, vcc_lo, s4, v30
	s_wait_alu 0xfffd
	v_add_co_ci_u32_e32 v31, vcc_lo, s5, v31, vcc_lo
	v_lshlrev_b64_e32 v[55:56], 4, v[0:1]
	v_add_co_u32 v53, vcc_lo, s4, v37
	s_wait_alu 0xfffd
	v_add_co_ci_u32_e32 v54, vcc_lo, s5, v38, vcc_lo
	s_clause 0x3
	global_load_b128 v[37:40], v[2:3], off offset:20496
	global_load_b128 v[41:44], v[30:31], off offset:20496
	;; [unrolled: 1-line block ×4, first 2 shown]
	v_add_co_u32 v2, vcc_lo, s4, v55
	s_wait_alu 0xfffd
	v_add_co_ci_u32_e32 v3, vcc_lo, s5, v56, vcc_lo
	s_clause 0x2
	global_load_b128 v[53:56], v[53:54], off offset:20496
	global_load_b128 v[57:60], v[2:3], off offset:20480
	;; [unrolled: 1-line block ×3, first 2 shown]
	ds_load_b64 v[2:3], v65 offset:10368
	ds_load_b64 v[61:62], v65 offset:20736
	;; [unrolled: 1-line block ×8, first 2 shown]
	v_mul_hi_u32 v0, 0xca4587e7, v29
	s_delay_alu instid0(VALU_DEP_1) | instskip(NEXT) | instid1(VALU_DEP_1)
	v_lshrrev_b32_e32 v0, 10, v0
	v_mul_u32_u24_e32 v0, 0xa20, v0
	s_wait_loadcnt_dscnt 0x707
	v_mul_f64_e32 v[30:31], v[35:36], v[2:3]
	v_mul_f64_e32 v[2:3], v[33:34], v[2:3]
	s_wait_loadcnt_dscnt 0x606
	v_mul_f64_e32 v[84:85], v[39:40], v[61:62]
	v_mul_f64_e32 v[61:62], v[37:38], v[61:62]
	s_wait_loadcnt_dscnt 0x405
	v_mul_f64_e32 v[86:87], v[45:46], v[72:73]
	s_wait_loadcnt_dscnt 0x303
	v_mul_f64_e32 v[90:91], v[51:52], v[76:77]
	v_mul_f64_e32 v[88:89], v[41:42], v[74:75]
	;; [unrolled: 1-line block ×4, first 2 shown]
	v_fma_f64 v[30:31], v[26:27], v[33:34], -v[30:31]
	v_fma_f64 v[2:3], v[26:27], v[35:36], v[2:3]
	s_wait_loadcnt_dscnt 0x202
	v_mul_f64_e32 v[26:27], v[55:56], v[78:79]
	v_mul_f64_e32 v[32:33], v[49:50], v[76:77]
	;; [unrolled: 1-line block ×3, first 2 shown]
	s_wait_loadcnt_dscnt 0x101
	v_mul_f64_e32 v[76:77], v[59:60], v[80:81]
	v_mul_f64_e32 v[78:79], v[57:58], v[80:81]
	s_wait_loadcnt_dscnt 0x0
	v_mul_f64_e32 v[80:81], v[68:69], v[82:83]
	v_mul_f64_e32 v[82:83], v[70:71], v[82:83]
	v_fma_f64 v[36:37], v[24:25], v[37:38], -v[84:85]
	v_fma_f64 v[24:25], v[24:25], v[39:40], v[61:62]
	v_fma_f64 v[38:39], v[12:13], v[47:48], v[86:87]
	v_fma_f64 v[47:48], v[20:21], v[49:50], -v[90:91]
	v_fma_f64 v[43:44], v[18:19], v[43:44], v[88:89]
	v_fma_f64 v[12:13], v[12:13], v[45:46], -v[72:73]
	ds_load_b64 v[61:62], v65 offset:7776
	v_fma_f64 v[26:27], v[22:23], v[53:54], -v[26:27]
	v_fma_f64 v[20:21], v[20:21], v[51:52], v[32:33]
	v_fma_f64 v[22:23], v[22:23], v[55:56], v[34:35]
	v_fma_f64 v[32:33], v[14:15], v[57:58], -v[76:77]
	v_fma_f64 v[14:15], v[14:15], v[59:60], v[78:79]
	v_fma_f64 v[34:35], v[16:17], v[70:71], v[80:81]
	v_fma_f64 v[49:50], v[16:17], v[68:69], -v[82:83]
	v_fma_f64 v[16:17], v[18:19], v[41:42], -v[74:75]
	ds_load_b64 v[51:52], v65
	ds_load_b64 v[70:71], v65 offset:5184
	ds_load_b64 v[72:73], v65 offset:2592
	v_mov_b32_e32 v65, v1
	v_add_f64_e32 v[40:41], v[30:31], v[36:37]
	v_add_f64_e32 v[18:19], v[2:3], v[24:25]
	v_add_f64_e64 v[78:79], v[2:3], -v[24:25]
	v_add_f64_e64 v[74:75], v[30:31], -v[36:37]
	v_add_f64_e32 v[45:46], v[38:39], v[43:44]
	s_wait_dscnt 0x3
	v_add_f64_e32 v[80:81], v[38:39], v[61:62]
	s_wait_dscnt 0x2
	v_add_f64_e32 v[76:77], v[2:3], v[51:52]
	v_add_f64_e32 v[2:3], v[6:7], v[30:31]
	;; [unrolled: 1-line block ×3, first 2 shown]
	v_add_f64_e64 v[82:83], v[47:48], -v[26:27]
	v_add_f64_e32 v[53:54], v[20:21], v[22:23]
	v_add_f64_e32 v[88:89], v[4:5], v[32:33]
	s_wait_dscnt 0x0
	v_add_f64_e32 v[86:87], v[14:15], v[72:73]
	v_add_f64_e32 v[57:58], v[14:15], v[34:35]
	;; [unrolled: 1-line block ×4, first 2 shown]
	v_add_f64_e64 v[30:31], v[12:13], -v[16:17]
	v_add_f64_e32 v[12:13], v[8:9], v[12:13]
	v_add_f64_e32 v[84:85], v[20:21], v[70:71]
	v_add_f64_e64 v[90:91], v[32:33], -v[49:50]
	v_add_f64_e32 v[47:48], v[10:11], v[47:48]
	v_fma_f64 v[40:41], v[40:41], -0.5, v[6:7]
	v_fma_f64 v[18:19], v[18:19], -0.5, v[51:52]
	v_add_f64_e64 v[51:52], v[20:21], -v[22:23]
	v_fma_f64 v[32:33], v[45:46], -0.5, v[61:62]
	v_add_f64_e64 v[61:62], v[14:15], -v[34:35]
	v_add_f64_e32 v[2:3], v[2:3], v[36:37]
	v_fma_f64 v[55:56], v[55:56], -0.5, v[10:11]
	v_fma_f64 v[53:54], v[53:54], -0.5, v[70:71]
	v_add_f64_e32 v[14:15], v[88:89], v[49:50]
	v_fma_f64 v[45:46], v[57:58], -0.5, v[72:73]
	v_fma_f64 v[57:58], v[59:60], -0.5, v[4:5]
	v_add_f64_e64 v[59:60], v[38:39], -v[43:44]
	v_fma_f64 v[68:69], v[68:69], -0.5, v[8:9]
	v_add_f64_e32 v[4:5], v[24:25], v[76:77]
	v_add_f64_e32 v[6:7], v[12:13], v[16:17]
	;; [unrolled: 1-line block ×6, first 2 shown]
	v_fma_f64 v[22:23], v[78:79], s[2:3], v[40:41]
	v_fma_f64 v[24:25], v[74:75], s[6:7], v[18:19]
	;; [unrolled: 1-line block ×9, first 2 shown]
	v_lshrrev_b32_e32 v54, 10, v63
	v_fma_f64 v[40:41], v[90:91], s[6:7], v[45:46]
	v_fma_f64 v[38:39], v[61:62], s[2:3], v[57:58]
	;; [unrolled: 1-line block ×7, first 2 shown]
	v_lshlrev_b64_e32 v[50:51], 4, v[64:65]
	v_add_co_u32 v55, vcc_lo, s8, v66
	s_wait_alu 0xfffd
	v_add_co_ci_u32_e32 v56, vcc_lo, s9, v67, vcc_lo
	v_lshlrev_b64_e32 v[52:53], 4, v[0:1]
	v_mul_u32_u24_e32 v0, 0xa20, v54
	v_add_co_u32 v50, vcc_lo, v55, v50
	s_wait_alu 0xfffd
	v_add_co_ci_u32_e32 v51, vcc_lo, v56, v51, vcc_lo
	s_delay_alu instid0(VALU_DEP_3) | instskip(NEXT) | instid1(VALU_DEP_3)
	v_lshlrev_b64_e32 v[0:1], 4, v[0:1]
	v_add_co_u32 v52, vcc_lo, v50, v52
	s_wait_alu 0xfffd
	s_delay_alu instid0(VALU_DEP_3) | instskip(NEXT) | instid1(VALU_DEP_3)
	v_add_co_ci_u32_e32 v53, vcc_lo, v51, v53, vcc_lo
	v_add_co_u32 v0, vcc_lo, v50, v0
	s_wait_alu 0xfffd
	v_add_co_ci_u32_e32 v1, vcc_lo, v51, v1, vcc_lo
	s_clause 0xb
	global_store_b128 v[50:51], v[2:5], off
	global_store_b128 v[50:51], v[14:17], off offset:5184
	global_store_b128 v[52:53], v[34:37], off offset:51840
	;; [unrolled: 1-line block ×11, first 2 shown]
.LBB0_17:
	s_nop 0
	s_sendmsg sendmsg(MSG_DEALLOC_VGPRS)
	s_endpgm
	.section	.rodata,"a",@progbits
	.p2align	6, 0x0
	.amdhsa_kernel fft_rtc_fwd_len3888_factors_16_3_3_3_3_3_wgs_324_tpt_324_halfLds_dp_ip_CI_unitstride_sbrr_dirReg
		.amdhsa_group_segment_fixed_size 0
		.amdhsa_private_segment_fixed_size 0
		.amdhsa_kernarg_size 88
		.amdhsa_user_sgpr_count 2
		.amdhsa_user_sgpr_dispatch_ptr 0
		.amdhsa_user_sgpr_queue_ptr 0
		.amdhsa_user_sgpr_kernarg_segment_ptr 1
		.amdhsa_user_sgpr_dispatch_id 0
		.amdhsa_user_sgpr_private_segment_size 0
		.amdhsa_wavefront_size32 1
		.amdhsa_uses_dynamic_stack 0
		.amdhsa_enable_private_segment 0
		.amdhsa_system_sgpr_workgroup_id_x 1
		.amdhsa_system_sgpr_workgroup_id_y 0
		.amdhsa_system_sgpr_workgroup_id_z 0
		.amdhsa_system_sgpr_workgroup_info 0
		.amdhsa_system_vgpr_workitem_id 0
		.amdhsa_next_free_vgpr 102
		.amdhsa_next_free_sgpr 32
		.amdhsa_reserve_vcc 1
		.amdhsa_float_round_mode_32 0
		.amdhsa_float_round_mode_16_64 0
		.amdhsa_float_denorm_mode_32 3
		.amdhsa_float_denorm_mode_16_64 3
		.amdhsa_fp16_overflow 0
		.amdhsa_workgroup_processor_mode 1
		.amdhsa_memory_ordered 1
		.amdhsa_forward_progress 0
		.amdhsa_round_robin_scheduling 0
		.amdhsa_exception_fp_ieee_invalid_op 0
		.amdhsa_exception_fp_denorm_src 0
		.amdhsa_exception_fp_ieee_div_zero 0
		.amdhsa_exception_fp_ieee_overflow 0
		.amdhsa_exception_fp_ieee_underflow 0
		.amdhsa_exception_fp_ieee_inexact 0
		.amdhsa_exception_int_div_zero 0
	.end_amdhsa_kernel
	.text
.Lfunc_end0:
	.size	fft_rtc_fwd_len3888_factors_16_3_3_3_3_3_wgs_324_tpt_324_halfLds_dp_ip_CI_unitstride_sbrr_dirReg, .Lfunc_end0-fft_rtc_fwd_len3888_factors_16_3_3_3_3_3_wgs_324_tpt_324_halfLds_dp_ip_CI_unitstride_sbrr_dirReg
                                        ; -- End function
	.section	.AMDGPU.csdata,"",@progbits
; Kernel info:
; codeLenInByte = 10220
; NumSgprs: 34
; NumVgprs: 102
; ScratchSize: 0
; MemoryBound: 1
; FloatMode: 240
; IeeeMode: 1
; LDSByteSize: 0 bytes/workgroup (compile time only)
; SGPRBlocks: 4
; VGPRBlocks: 12
; NumSGPRsForWavesPerEU: 34
; NumVGPRsForWavesPerEU: 102
; Occupancy: 12
; WaveLimiterHint : 1
; COMPUTE_PGM_RSRC2:SCRATCH_EN: 0
; COMPUTE_PGM_RSRC2:USER_SGPR: 2
; COMPUTE_PGM_RSRC2:TRAP_HANDLER: 0
; COMPUTE_PGM_RSRC2:TGID_X_EN: 1
; COMPUTE_PGM_RSRC2:TGID_Y_EN: 0
; COMPUTE_PGM_RSRC2:TGID_Z_EN: 0
; COMPUTE_PGM_RSRC2:TIDIG_COMP_CNT: 0
	.text
	.p2alignl 7, 3214868480
	.fill 96, 4, 3214868480
	.type	__hip_cuid_42f28a96a447b14b,@object ; @__hip_cuid_42f28a96a447b14b
	.section	.bss,"aw",@nobits
	.globl	__hip_cuid_42f28a96a447b14b
__hip_cuid_42f28a96a447b14b:
	.byte	0                               ; 0x0
	.size	__hip_cuid_42f28a96a447b14b, 1

	.ident	"AMD clang version 19.0.0git (https://github.com/RadeonOpenCompute/llvm-project roc-6.4.0 25133 c7fe45cf4b819c5991fe208aaa96edf142730f1d)"
	.section	".note.GNU-stack","",@progbits
	.addrsig
	.addrsig_sym __hip_cuid_42f28a96a447b14b
	.amdgpu_metadata
---
amdhsa.kernels:
  - .args:
      - .actual_access:  read_only
        .address_space:  global
        .offset:         0
        .size:           8
        .value_kind:     global_buffer
      - .offset:         8
        .size:           8
        .value_kind:     by_value
      - .actual_access:  read_only
        .address_space:  global
        .offset:         16
        .size:           8
        .value_kind:     global_buffer
      - .actual_access:  read_only
        .address_space:  global
        .offset:         24
        .size:           8
        .value_kind:     global_buffer
      - .offset:         32
        .size:           8
        .value_kind:     by_value
      - .actual_access:  read_only
        .address_space:  global
        .offset:         40
        .size:           8
        .value_kind:     global_buffer
      - .actual_access:  read_only
        .address_space:  global
        .offset:         48
        .size:           8
        .value_kind:     global_buffer
      - .offset:         56
        .size:           4
        .value_kind:     by_value
      - .actual_access:  read_only
        .address_space:  global
        .offset:         64
        .size:           8
        .value_kind:     global_buffer
      - .actual_access:  read_only
        .address_space:  global
        .offset:         72
        .size:           8
        .value_kind:     global_buffer
      - .address_space:  global
        .offset:         80
        .size:           8
        .value_kind:     global_buffer
    .group_segment_fixed_size: 0
    .kernarg_segment_align: 8
    .kernarg_segment_size: 88
    .language:       OpenCL C
    .language_version:
      - 2
      - 0
    .max_flat_workgroup_size: 324
    .name:           fft_rtc_fwd_len3888_factors_16_3_3_3_3_3_wgs_324_tpt_324_halfLds_dp_ip_CI_unitstride_sbrr_dirReg
    .private_segment_fixed_size: 0
    .sgpr_count:     34
    .sgpr_spill_count: 0
    .symbol:         fft_rtc_fwd_len3888_factors_16_3_3_3_3_3_wgs_324_tpt_324_halfLds_dp_ip_CI_unitstride_sbrr_dirReg.kd
    .uniform_work_group_size: 1
    .uses_dynamic_stack: false
    .vgpr_count:     102
    .vgpr_spill_count: 0
    .wavefront_size: 32
    .workgroup_processor_mode: 1
amdhsa.target:   amdgcn-amd-amdhsa--gfx1201
amdhsa.version:
  - 1
  - 2
...

	.end_amdgpu_metadata
